;; amdgpu-corpus repo=ROCm/rocFFT kind=compiled arch=gfx1201 opt=O3
	.text
	.amdgcn_target "amdgcn-amd-amdhsa--gfx1201"
	.amdhsa_code_object_version 6
	.protected	fft_rtc_fwd_len80_factors_5_2_8_wgs_60_tpt_10_halfLds_half_ip_CI_unitstride_sbrr_dirReg ; -- Begin function fft_rtc_fwd_len80_factors_5_2_8_wgs_60_tpt_10_halfLds_half_ip_CI_unitstride_sbrr_dirReg
	.globl	fft_rtc_fwd_len80_factors_5_2_8_wgs_60_tpt_10_halfLds_half_ip_CI_unitstride_sbrr_dirReg
	.p2align	8
	.type	fft_rtc_fwd_len80_factors_5_2_8_wgs_60_tpt_10_halfLds_half_ip_CI_unitstride_sbrr_dirReg,@function
fft_rtc_fwd_len80_factors_5_2_8_wgs_60_tpt_10_halfLds_half_ip_CI_unitstride_sbrr_dirReg: ; @fft_rtc_fwd_len80_factors_5_2_8_wgs_60_tpt_10_halfLds_half_ip_CI_unitstride_sbrr_dirReg
; %bb.0:
	s_load_b128 s[4:7], s[0:1], 0x0
	v_mul_u32_u24_e32 v1, 0x199a, v0
	s_clause 0x1
	s_load_b64 s[8:9], s[0:1], 0x50
	s_load_b64 s[10:11], s[0:1], 0x18
	v_mov_b32_e32 v3, 0
	v_lshrrev_b32_e32 v1, 16, v1
	s_delay_alu instid0(VALU_DEP_1) | instskip(SKIP_3) | instid1(VALU_DEP_1)
	v_mad_co_u64_u32 v[5:6], null, ttmp9, 6, v[1:2]
	v_mov_b32_e32 v1, 0
	v_mov_b32_e32 v2, 0
	;; [unrolled: 1-line block ×3, first 2 shown]
	v_dual_mov_b32 v9, v6 :: v_dual_mov_b32 v8, v5
	s_wait_kmcnt 0x0
	v_cmp_lt_u64_e64 s2, s[6:7], 2
	s_delay_alu instid0(VALU_DEP_1)
	s_and_b32 vcc_lo, exec_lo, s2
	s_cbranch_vccnz .LBB0_8
; %bb.1:
	s_load_b64 s[2:3], s[0:1], 0x10
	v_mov_b32_e32 v7, v6
	v_dual_mov_b32 v1, 0 :: v_dual_mov_b32 v6, v5
	v_mov_b32_e32 v2, 0
	s_add_nc_u64 s[12:13], s[10:11], 8
	s_mov_b64 s[14:15], 1
	s_wait_kmcnt 0x0
	s_add_nc_u64 s[16:17], s[2:3], 8
	s_mov_b32 s3, 0
.LBB0_2:                                ; =>This Inner Loop Header: Depth=1
	s_load_b64 s[18:19], s[16:17], 0x0
                                        ; implicit-def: $vgpr8_vgpr9
	s_mov_b32 s2, exec_lo
	s_wait_kmcnt 0x0
	v_or_b32_e32 v4, s19, v7
	s_delay_alu instid0(VALU_DEP_1)
	v_cmpx_ne_u64_e32 0, v[3:4]
	s_wait_alu 0xfffe
	s_xor_b32 s20, exec_lo, s2
	s_cbranch_execz .LBB0_4
; %bb.3:                                ;   in Loop: Header=BB0_2 Depth=1
	s_cvt_f32_u32 s2, s18
	s_cvt_f32_u32 s21, s19
	s_sub_nc_u64 s[24:25], 0, s[18:19]
	s_wait_alu 0xfffe
	s_delay_alu instid0(SALU_CYCLE_1) | instskip(SKIP_1) | instid1(SALU_CYCLE_2)
	s_fmamk_f32 s2, s21, 0x4f800000, s2
	s_wait_alu 0xfffe
	v_s_rcp_f32 s2, s2
	s_delay_alu instid0(TRANS32_DEP_1) | instskip(SKIP_1) | instid1(SALU_CYCLE_2)
	s_mul_f32 s2, s2, 0x5f7ffffc
	s_wait_alu 0xfffe
	s_mul_f32 s21, s2, 0x2f800000
	s_wait_alu 0xfffe
	s_delay_alu instid0(SALU_CYCLE_2) | instskip(SKIP_1) | instid1(SALU_CYCLE_2)
	s_trunc_f32 s21, s21
	s_wait_alu 0xfffe
	s_fmamk_f32 s2, s21, 0xcf800000, s2
	s_cvt_u32_f32 s23, s21
	s_wait_alu 0xfffe
	s_delay_alu instid0(SALU_CYCLE_1) | instskip(SKIP_1) | instid1(SALU_CYCLE_2)
	s_cvt_u32_f32 s22, s2
	s_wait_alu 0xfffe
	s_mul_u64 s[26:27], s[24:25], s[22:23]
	s_wait_alu 0xfffe
	s_mul_hi_u32 s29, s22, s27
	s_mul_i32 s28, s22, s27
	s_mul_hi_u32 s2, s22, s26
	s_mul_i32 s30, s23, s26
	s_wait_alu 0xfffe
	s_add_nc_u64 s[28:29], s[2:3], s[28:29]
	s_mul_hi_u32 s21, s23, s26
	s_mul_hi_u32 s31, s23, s27
	s_add_co_u32 s2, s28, s30
	s_wait_alu 0xfffe
	s_add_co_ci_u32 s2, s29, s21
	s_mul_i32 s26, s23, s27
	s_add_co_ci_u32 s27, s31, 0
	s_wait_alu 0xfffe
	s_add_nc_u64 s[26:27], s[2:3], s[26:27]
	s_wait_alu 0xfffe
	v_add_co_u32 v4, s2, s22, s26
	s_delay_alu instid0(VALU_DEP_1) | instskip(SKIP_1) | instid1(VALU_DEP_1)
	s_cmp_lg_u32 s2, 0
	s_add_co_ci_u32 s23, s23, s27
	v_readfirstlane_b32 s22, v4
	s_wait_alu 0xfffe
	s_delay_alu instid0(VALU_DEP_1)
	s_mul_u64 s[24:25], s[24:25], s[22:23]
	s_wait_alu 0xfffe
	s_mul_hi_u32 s27, s22, s25
	s_mul_i32 s26, s22, s25
	s_mul_hi_u32 s2, s22, s24
	s_mul_i32 s28, s23, s24
	s_wait_alu 0xfffe
	s_add_nc_u64 s[26:27], s[2:3], s[26:27]
	s_mul_hi_u32 s21, s23, s24
	s_mul_hi_u32 s22, s23, s25
	s_wait_alu 0xfffe
	s_add_co_u32 s2, s26, s28
	s_add_co_ci_u32 s2, s27, s21
	s_mul_i32 s24, s23, s25
	s_add_co_ci_u32 s25, s22, 0
	s_wait_alu 0xfffe
	s_add_nc_u64 s[24:25], s[2:3], s[24:25]
	s_wait_alu 0xfffe
	v_add_co_u32 v4, s2, v4, s24
	s_delay_alu instid0(VALU_DEP_1) | instskip(SKIP_1) | instid1(VALU_DEP_1)
	s_cmp_lg_u32 s2, 0
	s_add_co_ci_u32 s2, s23, s25
	v_mul_hi_u32 v14, v6, v4
	s_wait_alu 0xfffe
	v_mad_co_u64_u32 v[8:9], null, v6, s2, 0
	v_mad_co_u64_u32 v[10:11], null, v7, v4, 0
	;; [unrolled: 1-line block ×3, first 2 shown]
	s_delay_alu instid0(VALU_DEP_3) | instskip(SKIP_1) | instid1(VALU_DEP_4)
	v_add_co_u32 v4, vcc_lo, v14, v8
	s_wait_alu 0xfffd
	v_add_co_ci_u32_e32 v8, vcc_lo, 0, v9, vcc_lo
	s_delay_alu instid0(VALU_DEP_2) | instskip(SKIP_1) | instid1(VALU_DEP_2)
	v_add_co_u32 v4, vcc_lo, v4, v10
	s_wait_alu 0xfffd
	v_add_co_ci_u32_e32 v4, vcc_lo, v8, v11, vcc_lo
	s_wait_alu 0xfffd
	v_add_co_ci_u32_e32 v8, vcc_lo, 0, v13, vcc_lo
	s_delay_alu instid0(VALU_DEP_2) | instskip(SKIP_1) | instid1(VALU_DEP_2)
	v_add_co_u32 v4, vcc_lo, v4, v12
	s_wait_alu 0xfffd
	v_add_co_ci_u32_e32 v10, vcc_lo, 0, v8, vcc_lo
	s_delay_alu instid0(VALU_DEP_2) | instskip(SKIP_1) | instid1(VALU_DEP_3)
	v_mul_lo_u32 v11, s19, v4
	v_mad_co_u64_u32 v[8:9], null, s18, v4, 0
	v_mul_lo_u32 v12, s18, v10
	s_delay_alu instid0(VALU_DEP_2) | instskip(NEXT) | instid1(VALU_DEP_2)
	v_sub_co_u32 v8, vcc_lo, v6, v8
	v_add3_u32 v9, v9, v12, v11
	s_delay_alu instid0(VALU_DEP_1) | instskip(SKIP_1) | instid1(VALU_DEP_1)
	v_sub_nc_u32_e32 v11, v7, v9
	s_wait_alu 0xfffd
	v_subrev_co_ci_u32_e64 v11, s2, s19, v11, vcc_lo
	v_add_co_u32 v12, s2, v4, 2
	s_wait_alu 0xf1ff
	v_add_co_ci_u32_e64 v13, s2, 0, v10, s2
	v_sub_co_u32 v14, s2, v8, s18
	v_sub_co_ci_u32_e32 v9, vcc_lo, v7, v9, vcc_lo
	s_wait_alu 0xf1ff
	v_subrev_co_ci_u32_e64 v11, s2, 0, v11, s2
	s_delay_alu instid0(VALU_DEP_3) | instskip(NEXT) | instid1(VALU_DEP_3)
	v_cmp_le_u32_e32 vcc_lo, s18, v14
	v_cmp_eq_u32_e64 s2, s19, v9
	s_wait_alu 0xfffd
	v_cndmask_b32_e64 v14, 0, -1, vcc_lo
	v_cmp_le_u32_e32 vcc_lo, s19, v11
	s_wait_alu 0xfffd
	v_cndmask_b32_e64 v15, 0, -1, vcc_lo
	v_cmp_le_u32_e32 vcc_lo, s18, v8
	;; [unrolled: 3-line block ×3, first 2 shown]
	s_wait_alu 0xfffd
	v_cndmask_b32_e64 v16, 0, -1, vcc_lo
	v_cmp_eq_u32_e32 vcc_lo, s19, v11
	s_wait_alu 0xf1ff
	s_delay_alu instid0(VALU_DEP_2)
	v_cndmask_b32_e64 v8, v16, v8, s2
	s_wait_alu 0xfffd
	v_cndmask_b32_e32 v11, v15, v14, vcc_lo
	v_add_co_u32 v14, vcc_lo, v4, 1
	s_wait_alu 0xfffd
	v_add_co_ci_u32_e32 v15, vcc_lo, 0, v10, vcc_lo
	s_delay_alu instid0(VALU_DEP_3) | instskip(SKIP_2) | instid1(VALU_DEP_3)
	v_cmp_ne_u32_e32 vcc_lo, 0, v11
	s_wait_alu 0xfffd
	v_cndmask_b32_e32 v11, v14, v12, vcc_lo
	v_cndmask_b32_e32 v9, v15, v13, vcc_lo
	v_cmp_ne_u32_e32 vcc_lo, 0, v8
	s_wait_alu 0xfffd
	s_delay_alu instid0(VALU_DEP_2)
	v_dual_cndmask_b32 v8, v4, v11 :: v_dual_cndmask_b32 v9, v10, v9
.LBB0_4:                                ;   in Loop: Header=BB0_2 Depth=1
	s_wait_alu 0xfffe
	s_and_not1_saveexec_b32 s2, s20
	s_cbranch_execz .LBB0_6
; %bb.5:                                ;   in Loop: Header=BB0_2 Depth=1
	v_cvt_f32_u32_e32 v4, s18
	s_sub_co_i32 s20, 0, s18
	s_delay_alu instid0(VALU_DEP_1) | instskip(NEXT) | instid1(TRANS32_DEP_1)
	v_rcp_iflag_f32_e32 v4, v4
	v_mul_f32_e32 v4, 0x4f7ffffe, v4
	s_delay_alu instid0(VALU_DEP_1) | instskip(SKIP_1) | instid1(VALU_DEP_1)
	v_cvt_u32_f32_e32 v4, v4
	s_wait_alu 0xfffe
	v_mul_lo_u32 v8, s20, v4
	s_delay_alu instid0(VALU_DEP_1) | instskip(NEXT) | instid1(VALU_DEP_1)
	v_mul_hi_u32 v8, v4, v8
	v_add_nc_u32_e32 v4, v4, v8
	s_delay_alu instid0(VALU_DEP_1) | instskip(NEXT) | instid1(VALU_DEP_1)
	v_mul_hi_u32 v4, v6, v4
	v_mul_lo_u32 v8, v4, s18
	s_delay_alu instid0(VALU_DEP_1) | instskip(NEXT) | instid1(VALU_DEP_1)
	v_sub_nc_u32_e32 v8, v6, v8
	v_subrev_nc_u32_e32 v10, s18, v8
	v_cmp_le_u32_e32 vcc_lo, s18, v8
	s_wait_alu 0xfffd
	s_delay_alu instid0(VALU_DEP_2) | instskip(NEXT) | instid1(VALU_DEP_1)
	v_dual_cndmask_b32 v8, v8, v10 :: v_dual_add_nc_u32 v9, 1, v4
	v_cndmask_b32_e32 v4, v4, v9, vcc_lo
	s_delay_alu instid0(VALU_DEP_2) | instskip(NEXT) | instid1(VALU_DEP_2)
	v_cmp_le_u32_e32 vcc_lo, s18, v8
	v_add_nc_u32_e32 v9, 1, v4
	s_wait_alu 0xfffd
	s_delay_alu instid0(VALU_DEP_1)
	v_dual_cndmask_b32 v8, v4, v9 :: v_dual_mov_b32 v9, v3
.LBB0_6:                                ;   in Loop: Header=BB0_2 Depth=1
	s_wait_alu 0xfffe
	s_or_b32 exec_lo, exec_lo, s2
	s_load_b64 s[20:21], s[12:13], 0x0
	s_delay_alu instid0(VALU_DEP_1)
	v_mul_lo_u32 v4, v9, s18
	v_mul_lo_u32 v12, v8, s19
	v_mad_co_u64_u32 v[10:11], null, v8, s18, 0
	s_add_nc_u64 s[14:15], s[14:15], 1
	s_add_nc_u64 s[12:13], s[12:13], 8
	s_wait_alu 0xfffe
	v_cmp_ge_u64_e64 s2, s[14:15], s[6:7]
	s_add_nc_u64 s[16:17], s[16:17], 8
	s_delay_alu instid0(VALU_DEP_2) | instskip(NEXT) | instid1(VALU_DEP_3)
	v_add3_u32 v4, v11, v12, v4
	v_sub_co_u32 v6, vcc_lo, v6, v10
	s_wait_alu 0xfffd
	s_delay_alu instid0(VALU_DEP_2) | instskip(SKIP_3) | instid1(VALU_DEP_2)
	v_sub_co_ci_u32_e32 v4, vcc_lo, v7, v4, vcc_lo
	s_and_b32 vcc_lo, exec_lo, s2
	s_wait_kmcnt 0x0
	v_mul_lo_u32 v7, s21, v6
	v_mul_lo_u32 v4, s20, v4
	v_mad_co_u64_u32 v[1:2], null, s20, v6, v[1:2]
	s_delay_alu instid0(VALU_DEP_1)
	v_add3_u32 v2, v7, v2, v4
	s_wait_alu 0xfffe
	s_cbranch_vccnz .LBB0_8
; %bb.7:                                ;   in Loop: Header=BB0_2 Depth=1
	v_dual_mov_b32 v6, v8 :: v_dual_mov_b32 v7, v9
	s_branch .LBB0_2
.LBB0_8:
	s_lshl_b64 s[2:3], s[6:7], 3
	v_mul_hi_u32 v3, 0x1999999a, v0
	s_wait_alu 0xfffe
	s_add_nc_u64 s[2:3], s[10:11], s[2:3]
                                        ; implicit-def: $vgpr7
                                        ; implicit-def: $vgpr19
                                        ; implicit-def: $vgpr16
                                        ; implicit-def: $vgpr12
                                        ; implicit-def: $vgpr10
                                        ; implicit-def: $vgpr13
                                        ; implicit-def: $vgpr11
                                        ; implicit-def: $vgpr15
                                        ; implicit-def: $vgpr14
                                        ; implicit-def: $vgpr25
                                        ; implicit-def: $vgpr17
                                        ; implicit-def: $vgpr18
	s_load_b64 s[2:3], s[2:3], 0x0
	s_load_b64 s[0:1], s[0:1], 0x20
	s_delay_alu instid0(VALU_DEP_1) | instskip(NEXT) | instid1(VALU_DEP_1)
	v_mul_u32_u24_e32 v3, 10, v3
	v_sub_nc_u32_e32 v3, v0, v3
	s_wait_kmcnt 0x0
	v_mul_lo_u32 v4, s2, v9
	v_mul_lo_u32 v6, s3, v8
	v_mad_co_u64_u32 v[1:2], null, s2, v8, v[1:2]
	v_cmp_gt_u64_e32 vcc_lo, s[0:1], v[8:9]
                                        ; implicit-def: $vgpr9
                                        ; implicit-def: $vgpr8
	s_delay_alu instid0(VALU_DEP_2) | instskip(NEXT) | instid1(VALU_DEP_1)
	v_add3_u32 v2, v6, v2, v4
                                        ; implicit-def: $vgpr4
                                        ; implicit-def: $vgpr6
	v_lshlrev_b64_e32 v[0:1], 2, v[1:2]
	v_mov_b32_e32 v2, 0
	s_and_saveexec_b32 s1, vcc_lo
	s_cbranch_execz .LBB0_12
; %bb.9:
	v_mov_b32_e32 v4, 0
	s_delay_alu instid0(VALU_DEP_3) | instskip(SKIP_1) | instid1(VALU_DEP_2)
	v_add_co_u32 v2, s0, s8, v0
	s_mov_b32 s2, exec_lo
                                        ; implicit-def: $vgpr14
                                        ; implicit-def: $vgpr8
                                        ; implicit-def: $vgpr15
                                        ; implicit-def: $vgpr9
                                        ; implicit-def: $vgpr11
                                        ; implicit-def: $vgpr13
                                        ; implicit-def: $vgpr10
                                        ; implicit-def: $vgpr12
                                        ; implicit-def: $vgpr16
	v_lshlrev_b64_e32 v[6:7], 2, v[3:4]
	s_wait_alu 0xf1ff
	v_add_co_ci_u32_e64 v4, s0, s9, v1, s0
	s_delay_alu instid0(VALU_DEP_2) | instskip(SKIP_1) | instid1(VALU_DEP_2)
	v_add_co_u32 v6, s0, v2, v6
	s_wait_alu 0xf1ff
	v_add_co_ci_u32_e64 v7, s0, v4, v7, s0
                                        ; implicit-def: $vgpr4
	s_clause 0x4
	global_load_b32 v19, v[6:7], off
	global_load_b32 v2, v[6:7], off offset:64
	global_load_b32 v17, v[6:7], off offset:128
	;; [unrolled: 1-line block ×4, first 2 shown]
	v_cmpx_gt_u32_e32 6, v3
	s_cbranch_execz .LBB0_11
; %bb.10:
	s_clause 0x4
	global_load_b32 v16, v[6:7], off offset:40
	global_load_b32 v10, v[6:7], off offset:104
	;; [unrolled: 1-line block ×5, first 2 shown]
	s_wait_loadcnt 0x4
	v_lshrrev_b32_e32 v4, 16, v16
	s_wait_loadcnt 0x3
	v_lshrrev_b32_e32 v12, 16, v10
	s_wait_loadcnt 0x2
	v_lshrrev_b32_e32 v13, 16, v11
	s_wait_loadcnt 0x1
	v_lshrrev_b32_e32 v8, 16, v14
	s_wait_loadcnt 0x0
	v_lshrrev_b32_e32 v9, 16, v15
.LBB0_11:
	s_wait_alu 0xfffe
	s_or_b32 exec_lo, exec_lo, s2
	s_wait_loadcnt 0x4
	v_lshrrev_b32_e32 v7, 16, v19
	s_wait_loadcnt 0x2
	v_perm_b32 v6, v17, v2, 0x7060302
	s_wait_loadcnt 0x0
	v_perm_b32 v25, v18, v20, 0x7060302
	v_perm_b32 v17, v17, v2, 0x5040100
	;; [unrolled: 1-line block ×3, first 2 shown]
	v_mov_b32_e32 v2, v3
.LBB0_12:
	s_wait_alu 0xfffe
	s_or_b32 exec_lo, exec_lo, s1
	v_mul_hi_u32 v20, 0xaaaaaaab, v5
	v_pk_add_f16 v21, v17, v18
	v_pk_add_f16 v22, v6, v25 neg_lo:[0,1] neg_hi:[0,1]
	v_lshrrev_b32_e32 v24, 16, v17
	v_pk_add_f16 v26, v17, v17 op_sel:[1,0] op_sel_hi:[0,1] neg_lo:[0,1] neg_hi:[0,1]
	v_lshrrev_b32_e32 v28, 16, v18
	v_pk_fma_f16 v21, v21, -0.5, v19 op_sel_hi:[1,0,0]
	v_pk_mul_f16 v23, 0x3b9c, v22 op_sel_hi:[0,1]
	v_lshrrev_b32_e32 v20, 2, v20
	v_add_f16_e32 v19, v17, v19
	v_cmp_gt_u32_e64 s0, 6, v3
	s_delay_alu instid0(VALU_DEP_4)
	v_pk_add_f16 v27, v21, v23 op_sel:[0,1] op_sel_hi:[1,0]
	v_pk_add_f16 v21, v21, v23 op_sel:[0,1] op_sel_hi:[1,0] neg_lo:[0,1] neg_hi:[0,1]
	v_mul_lo_u32 v20, v20, 6
	v_pk_add_f16 v23, v18, v18 op_sel:[1,0] op_sel_hi:[0,1] neg_lo:[0,1] neg_hi:[0,1]
	v_add_f16_e32 v24, v19, v24
	v_mad_u32_u24 v19, v3, 10, 0
	v_bfi_b32 v29, 0xffff, v21, v27
	v_bfi_b32 v21, 0xffff, v27, v21
	v_pk_add_f16 v23, v26, v23
	v_add_f16_e32 v24, v24, v28
	v_sub_nc_u32_e32 v5, v5, v20
	v_pk_fma_f16 v26, 0x38b4, v22, v29 op_sel_hi:[0,1,1]
	v_pk_fma_f16 v21, 0x38b4, v22, v21 op_sel_hi:[0,1,1] neg_lo:[0,1,0] neg_hi:[0,1,0]
	s_delay_alu instid0(VALU_DEP_4) | instskip(NEXT) | instid1(VALU_DEP_4)
	v_add_f16_e32 v24, v24, v18
	v_mul_u32_u24_e32 v20, 0x50, v5
	s_delay_alu instid0(VALU_DEP_4) | instskip(NEXT) | instid1(VALU_DEP_4)
	v_pk_fma_f16 v26, 0x34f2, v23, v26 op_sel_hi:[0,1,1]
	v_pk_fma_f16 v22, 0x34f2, v23, v21 op_sel_hi:[0,1,1]
	s_delay_alu instid0(VALU_DEP_3) | instskip(NEXT) | instid1(VALU_DEP_3)
	v_lshl_add_u32 v5, v20, 1, v19
	v_alignbit_b32 v21, v26, v26, 16
	ds_store_b16 v5, v24
	ds_store_b64 v5, v[21:22] offset:2
	s_and_saveexec_b32 s1, s0
	s_cbranch_execz .LBB0_14
; %bb.13:
	v_add_f16_e32 v21, v10, v15
	v_sub_f16_e32 v22, v11, v10
	v_sub_f16_e32 v23, v14, v15
	v_add_f16_e32 v26, v11, v14
	v_sub_f16_e32 v24, v13, v8
	v_fma_f16 v21, -0.5, v21, v16
	v_sub_f16_e32 v27, v12, v9
	v_add_f16_e32 v22, v22, v23
	v_fma_f16 v23, -0.5, v26, v16
	v_add_f16_e32 v16, v16, v10
	v_fmamk_f16 v26, v24, 0x3b9c, v21
	v_fmac_f16_e32 v21, 0xbb9c, v24
	v_sub_f16_e32 v28, v10, v11
	v_sub_f16_e32 v29, v15, v14
	v_fmamk_f16 v30, v27, 0xbb9c, v23
	v_fmac_f16_e32 v23, 0x3b9c, v27
	v_add_f16_e32 v16, v16, v11
	v_fmac_f16_e32 v26, 0xb8b4, v27
	v_fmac_f16_e32 v21, 0x38b4, v27
	v_add_f16_e32 v27, v28, v29
	v_fmac_f16_e32 v23, 0x38b4, v24
	v_add_f16_e32 v16, v16, v14
	v_fmac_f16_e32 v26, 0x34f2, v22
	v_fmac_f16_e32 v21, 0x34f2, v22
	;; [unrolled: 1-line block ×4, first 2 shown]
	v_add_f16_e32 v16, v15, v16
	s_delay_alu instid0(VALU_DEP_4) | instskip(NEXT) | instid1(VALU_DEP_4)
	v_pack_b32_f16 v22, v21, v26
	v_fmac_f16_e32 v30, 0x34f2, v27
	s_delay_alu instid0(VALU_DEP_3)
	v_pack_b32_f16 v21, v16, v23
	ds_store_b64 v5, v[21:22] offset:100
	ds_store_b16 v5, v30 offset:108
.LBB0_14:
	s_wait_alu 0xfffe
	s_or_b32 exec_lo, exec_lo, s1
	v_pk_add_f16 v16, v6, v25
	v_add_f16_e32 v21, v6, v7
	v_lshrrev_b32_e32 v22, 16, v6
	v_pk_add_f16 v17, v17, v18 neg_lo:[0,1] neg_hi:[0,1]
	v_pk_add_f16 v31, v6, v6 op_sel:[0,1] op_sel_hi:[1,0] neg_lo:[0,1] neg_hi:[0,1]
	v_pk_fma_f16 v7, v16, -0.5, v7 op_sel_hi:[1,0,0]
	v_lshlrev_b32_e32 v16, 3, v3
	v_add_f16_e32 v27, v21, v22
	v_lshlrev_b32_e32 v21, 1, v20
	v_lshlrev_b32_e32 v6, 1, v3
	v_pk_fma_f16 v29, 0x3b9c, v17, v7 op_sel:[0,0,1] op_sel_hi:[0,1,0] neg_lo:[0,1,0] neg_hi:[0,1,0]
	v_pk_fma_f16 v30, 0x3b9c, v17, v7 op_sel:[0,0,1] op_sel_hi:[0,1,0]
	v_sub_nc_u32_e32 v7, v19, v16
	v_pk_mul_f16 v28, 0x38b4, v17 op_sel_hi:[0,1]
	v_add3_u32 v6, 0, v21, v6
	global_wb scope:SCOPE_SE
	s_wait_dscnt 0x0
	s_barrier_signal -1
	v_add_nc_u32_e32 v7, v7, v21
	s_barrier_wait -1
	global_inv scope:SCOPE_SE
	ds_load_u16 v22, v6
	ds_load_u16 v18, v7 offset:20
	ds_load_u16 v17, v7 offset:40
	;; [unrolled: 1-line block ×7, first 2 shown]
	v_pk_add_f16 v32, v25, v25 op_sel:[0,1] op_sel_hi:[1,0] neg_lo:[0,1] neg_hi:[0,1]
	v_bfi_b32 v33, 0xffff, v30, v29
	v_lshrrev_b32_e32 v26, 16, v25
	v_bfi_b32 v29, 0xffff, v29, v30
	global_wb scope:SCOPE_SE
	s_wait_dscnt 0x0
	v_pk_add_f16 v30, v31, v32
	v_pk_add_f16 v31, v28, v33 op_sel:[1,0] op_sel_hi:[0,1]
	v_add_f16_e32 v26, v27, v26
	v_pk_add_f16 v27, v29, v28 op_sel:[0,1] op_sel_hi:[1,0] neg_lo:[0,1] neg_hi:[0,1]
	s_barrier_signal -1
	s_barrier_wait -1
	v_pk_fma_f16 v28, 0x34f2, v30, v31 op_sel_hi:[0,1,1]
	v_add_f16_e32 v29, v26, v25
	v_add_nc_u32_e32 v25, 10, v3
	v_pk_fma_f16 v26, 0x34f2, v30, v27 op_sel_hi:[0,1,1]
	global_inv scope:SCOPE_SE
	v_alignbit_b32 v27, v28, v28, 16
	ds_store_b16 v5, v29
	ds_store_b64 v5, v[26:27] offset:2
	s_and_saveexec_b32 s1, s0
	s_cbranch_execz .LBB0_16
; %bb.15:
	v_add_f16_e32 v5, v4, v12
	v_add_f16_e32 v26, v13, v8
	;; [unrolled: 1-line block ×3, first 2 shown]
	v_sub_f16_e32 v10, v10, v15
	v_sub_f16_e32 v11, v11, v14
	v_add_f16_e32 v5, v5, v13
	v_fma_f16 v14, -0.5, v26, v4
	v_fmac_f16_e32 v4, -0.5, v27
	v_sub_f16_e32 v15, v12, v13
	v_sub_f16_e32 v12, v13, v12
	v_add_f16_e32 v5, v5, v8
	v_sub_f16_e32 v13, v8, v9
	v_fmamk_f16 v26, v11, 0x3b9c, v4
	v_fmamk_f16 v27, v10, 0xbb9c, v14
	v_fmac_f16_e32 v4, 0xbb9c, v11
	v_add_f16_e32 v28, v9, v5
	v_sub_f16_e32 v5, v9, v8
	v_fmac_f16_e32 v26, 0xb8b4, v10
	v_add_f16_e32 v8, v12, v13
	v_fmac_f16_e32 v27, 0xb8b4, v11
	v_fmac_f16_e32 v4, 0x38b4, v10
	v_add_f16_e32 v9, v15, v5
	v_fmac_f16_e32 v14, 0x3b9c, v10
	v_fmac_f16_e32 v26, 0x34f2, v8
	v_mul_u32_u24_e32 v5, 10, v25
	v_fmac_f16_e32 v4, 0x34f2, v8
	v_fmac_f16_e32 v27, 0x34f2, v9
	v_fmac_f16_e32 v14, 0x38b4, v11
	s_delay_alu instid0(VALU_DEP_4) | instskip(NEXT) | instid1(VALU_DEP_4)
	v_add3_u32 v8, 0, v5, v21
	v_pack_b32_f16 v5, v26, v4
	s_delay_alu instid0(VALU_DEP_4) | instskip(NEXT) | instid1(VALU_DEP_4)
	v_pack_b32_f16 v4, v28, v27
	v_fmac_f16_e32 v14, 0x34f2, v9
	ds_store_b64 v8, v[4:5]
	ds_store_b16 v8, v14 offset:8
.LBB0_16:
	s_wait_alu 0xfffe
	s_or_b32 exec_lo, exec_lo, s1
	v_and_b32_e32 v5, 0xff, v25
	v_add_nc_u16 v10, v3, 20
	v_add_nc_u32_e32 v4, -5, v3
	v_add_nc_u16 v11, v3, 30
	v_cmp_gt_u32_e64 s0, 5, v3
	v_mul_lo_u16 v8, 0xcd, v5
	v_mov_b32_e32 v5, 0
	v_and_b32_e32 v9, 0xff, v10
	v_and_b32_e32 v12, 0xff, v11
	s_wait_alu 0xf1ff
	v_cndmask_b32_e64 v4, v4, v3, s0
	v_lshrrev_b16 v13, 10, v8
	global_wb scope:SCOPE_SE
	s_wait_dscnt 0x0
	v_mul_lo_u16 v14, 0xcd, v9
	v_mul_lo_u16 v12, 0xcd, v12
	v_lshlrev_b64_e32 v[8:9], 2, v[4:5]
	v_mul_lo_u16 v15, v13, 5
	s_barrier_signal -1
	v_lshrrev_b16 v14, 10, v14
	v_lshrrev_b16 v12, 10, v12
	s_barrier_wait -1
	v_add_co_u32 v8, s0, s4, v8
	s_wait_alu 0xf1ff
	v_add_co_ci_u32_e64 v9, s0, s5, v9, s0
	v_sub_nc_u16 v15, v25, v15
	v_mul_lo_u16 v25, v14, 5
	v_mul_lo_u16 v26, v12, 5
	global_inv scope:SCOPE_SE
	global_load_b32 v8, v[8:9], off
	v_and_b32_e32 v9, 0xff, v15
	v_sub_nc_u16 v10, v10, v25
	v_sub_nc_u16 v11, v11, v26
	v_cmp_lt_u32_e64 s0, 4, v3
	v_and_b32_e32 v13, 0xffff, v13
	v_lshlrev_b32_e32 v15, 2, v9
	v_and_b32_e32 v10, 0xff, v10
	v_and_b32_e32 v11, 0xff, v11
	s_wait_alu 0xf1ff
	v_cndmask_b32_e64 v32, 0, 20, s0
	v_lshlrev_b32_e32 v4, 1, v4
	global_load_b32 v15, v15, s[4:5]
	v_lshlrev_b32_e32 v25, 2, v10
	v_lshlrev_b32_e32 v26, 2, v11
	s_clause 0x1
	global_load_b32 v25, v25, s[4:5]
	global_load_b32 v26, v26, s[4:5]
	ds_load_u16 v27, v6
	ds_load_u16 v28, v7 offset:20
	ds_load_u16 v29, v7 offset:40
	;; [unrolled: 1-line block ×4, first 2 shown]
	v_add_nc_u32_e32 v32, 0, v32
	v_and_b32_e32 v14, 0xffff, v14
	ds_load_u16 v33, v7 offset:100
	ds_load_u16 v34, v7 offset:120
	;; [unrolled: 1-line block ×3, first 2 shown]
	v_mad_u32_u24 v13, v13, 20, 0
	v_lshlrev_b32_e32 v9, 1, v9
	v_add3_u32 v32, v32, v4, v21
	v_mad_u32_u24 v4, v14, 20, 0
	v_and_b32_e32 v12, 0xffff, v12
	global_wb scope:SCOPE_SE
	s_wait_loadcnt_dscnt 0x0
	v_add3_u32 v36, v13, v9, v21
	v_lshlrev_b32_e32 v9, 1, v10
	v_lshlrev_b32_e32 v10, 1, v11
	v_mad_u32_u24 v12, v12, 20, 0
	s_barrier_signal -1
	s_barrier_wait -1
	global_inv scope:SCOPE_SE
	v_lshrrev_b32_e32 v14, 16, v8
	s_delay_alu instid0(VALU_DEP_1) | instskip(SKIP_1) | instid1(VALU_DEP_2)
	v_mul_f16_e32 v11, v31, v14
	v_mul_f16_e32 v13, v24, v14
	v_fma_f16 v11, v24, v8, -v11
	s_delay_alu instid0(VALU_DEP_2)
	v_fmac_f16_e32 v13, v31, v8
	v_lshrrev_b32_e32 v8, 16, v15
	v_add3_u32 v24, v4, v9, v21
	v_add3_u32 v21, v12, v10, v21
	v_sub_f16_e32 v4, v22, v11
	v_lshrrev_b32_e32 v10, 16, v25
	v_lshrrev_b32_e32 v11, 16, v26
	v_mul_f16_e32 v9, v33, v8
	v_sub_f16_e32 v31, v27, v13
	v_fma_f16 v12, v22, 2.0, -v4
	v_mul_f16_e32 v13, v34, v10
	v_mul_f16_e32 v8, v23, v8
	;; [unrolled: 1-line block ×3, first 2 shown]
	v_fma_f16 v9, v23, v15, -v9
	v_mul_f16_e32 v10, v20, v10
	ds_store_b16 v32, v12
	ds_store_b16 v32, v4 offset:10
	v_fma_f16 v4, v20, v25, -v13
	v_fmac_f16_e32 v8, v33, v15
	v_mul_f16_e32 v11, v19, v11
	v_fma_f16 v12, v19, v26, -v14
	v_sub_f16_e32 v9, v18, v9
	v_fmac_f16_e32 v10, v34, v25
	v_sub_f16_e32 v4, v17, v4
	v_fmac_f16_e32 v11, v35, v26
	v_sub_f16_e32 v15, v28, v8
	v_sub_f16_e32 v8, v16, v12
	v_fma_f16 v12, v18, 2.0, -v9
	v_sub_f16_e32 v18, v29, v10
	v_fma_f16 v10, v17, 2.0, -v4
	;; [unrolled: 2-line block ×3, first 2 shown]
	ds_store_b16 v36, v12
	ds_store_b16 v36, v9 offset:10
	ds_store_b16 v24, v10
	ds_store_b16 v24, v4 offset:10
	;; [unrolled: 2-line block ×3, first 2 shown]
	global_wb scope:SCOPE_SE
	s_wait_dscnt 0x0
	s_barrier_signal -1
	s_barrier_wait -1
	global_inv scope:SCOPE_SE
	ds_load_u16 v4, v6
	ds_load_u16 v12, v7 offset:20
	ds_load_u16 v8, v7 offset:40
	;; [unrolled: 1-line block ×7, first 2 shown]
	v_fma_f16 v22, v27, 2.0, -v31
	v_fma_f16 v16, v28, 2.0, -v15
	;; [unrolled: 1-line block ×4, first 2 shown]
	global_wb scope:SCOPE_SE
	s_wait_dscnt 0x0
	s_barrier_signal -1
	s_barrier_wait -1
	global_inv scope:SCOPE_SE
	ds_store_b16 v32, v22
	ds_store_b16 v32, v31 offset:10
	ds_store_b16 v36, v16
	ds_store_b16 v36, v15 offset:10
	ds_store_b16 v24, v19
	ds_store_b16 v24, v18 offset:10
	ds_store_b16 v21, v20
	ds_store_b16 v21, v17 offset:10
	global_wb scope:SCOPE_SE
	s_wait_dscnt 0x0
	s_barrier_signal -1
	s_barrier_wait -1
	global_inv scope:SCOPE_SE
	s_and_saveexec_b32 s0, vcc_lo
	s_cbranch_execz .LBB0_18
; %bb.17:
	v_mul_u32_u24_e32 v3, 7, v3
	s_delay_alu instid0(VALU_DEP_1)
	v_lshlrev_b32_e32 v3, 2, v3
	s_clause 0x1
	global_load_b128 v[15:18], v3, s[4:5] offset:20
	global_load_b96 v[19:21], v3, s[4:5] offset:36
	ds_load_u16 v22, v7 offset:80
	ds_load_u16 v23, v7 offset:140
	;; [unrolled: 1-line block ×7, first 2 shown]
	ds_load_u16 v6, v6
	v_mov_b32_e32 v3, v5
	v_add_co_u32 v5, vcc_lo, s8, v0
	s_wait_alu 0xfffd
	v_add_co_ci_u32_e32 v28, vcc_lo, s9, v1, vcc_lo
	s_delay_alu instid0(VALU_DEP_3) | instskip(NEXT) | instid1(VALU_DEP_1)
	v_lshlrev_b64_e32 v[0:1], 2, v[2:3]
	v_add_co_u32 v0, vcc_lo, v5, v0
	s_wait_alu 0xfffd
	s_delay_alu instid0(VALU_DEP_2)
	v_add_co_ci_u32_e32 v1, vcc_lo, v28, v1, vcc_lo
	s_wait_loadcnt 0x1
	v_lshrrev_b32_e32 v2, 16, v15
	v_lshrrev_b32_e32 v3, 16, v16
	;; [unrolled: 1-line block ×4, first 2 shown]
	s_wait_loadcnt 0x0
	v_lshrrev_b32_e32 v31, 16, v20
	v_lshrrev_b32_e32 v32, 16, v19
	;; [unrolled: 1-line block ×3, first 2 shown]
	s_wait_dscnt 0x7
	v_mul_f16_e32 v34, v22, v29
	v_mul_f16_e32 v35, v8, v3
	;; [unrolled: 1-line block ×3, first 2 shown]
	s_wait_dscnt 0x3
	v_mul_f16_e32 v37, v26, v2
	v_mul_f16_e32 v38, v25, v32
	;; [unrolled: 1-line block ×6, first 2 shown]
	s_wait_dscnt 0x1
	v_mul_f16_e32 v30, v7, v30
	v_mul_f16_e32 v33, v23, v33
	;; [unrolled: 1-line block ×5, first 2 shown]
	v_fma_f16 v14, v14, v18, -v34
	v_fmac_f16_e32 v35, v27, v16
	v_fmac_f16_e32 v36, v24, v20
	v_fma_f16 v12, v12, v15, -v37
	v_fma_f16 v13, v13, v19, -v38
	v_fmac_f16_e32 v39, v7, v17
	v_fmac_f16_e32 v40, v23, v21
	;; [unrolled: 1-line block ×4, first 2 shown]
	v_fma_f16 v7, v10, v17, -v30
	v_fma_f16 v10, v11, v21, -v33
	v_fmac_f16_e32 v29, v18, v22
	v_fma_f16 v3, v8, v16, -v3
	v_fma_f16 v8, v9, v20, -v31
	v_sub_f16_e32 v9, v4, v14
	v_sub_f16_e32 v11, v35, v36
	;; [unrolled: 1-line block ×6, first 2 shown]
	s_wait_dscnt 0x0
	v_sub_f16_e32 v16, v6, v29
	v_sub_f16_e32 v8, v3, v8
	;; [unrolled: 1-line block ×4, first 2 shown]
	v_fma_f16 v4, v4, 2.0, -v9
	v_fma_f16 v2, v2, 2.0, -v15
	v_add_f16_e32 v19, v8, v16
	v_fma_f16 v3, v3, 2.0, -v8
	v_fma_f16 v8, v39, 2.0, -v14
	;; [unrolled: 1-line block ×6, first 2 shown]
	v_add_f16_e32 v18, v15, v10
	v_fmamk_f16 v10, v17, 0x39a8, v5
	v_sub_f16_e32 v3, v4, v3
	v_sub_f16_e32 v8, v2, v8
	;; [unrolled: 1-line block ×4, first 2 shown]
	v_fma_f16 v9, v9, 2.0, -v5
	v_fma_f16 v13, v13, 2.0, -v17
	;; [unrolled: 1-line block ×4, first 2 shown]
	v_fmamk_f16 v14, v18, 0x39a8, v19
	v_fmac_f16_e32 v10, 0xb9a8, v18
	v_add_f16_e32 v18, v11, v7
	v_fma_f16 v4, v4, 2.0, -v3
	v_fma_f16 v7, v12, 2.0, -v7
	;; [unrolled: 1-line block ×4, first 2 shown]
	v_fmamk_f16 v20, v13, 0xb9a8, v9
	v_fmamk_f16 v21, v15, 0xb9a8, v16
	v_sub_f16_e32 v7, v4, v7
	v_fmac_f16_e32 v14, 0x39a8, v17
	v_sub_f16_e32 v2, v6, v2
	v_fmac_f16_e32 v20, 0xb9a8, v15
	v_fmac_f16_e32 v21, 0x39a8, v13
	v_sub_f16_e32 v17, v3, v8
	v_fma_f16 v4, v4, 2.0, -v7
	v_fma_f16 v6, v6, 2.0, -v2
	v_fma_f16 v9, v9, 2.0, -v20
	v_fma_f16 v12, v16, 2.0, -v21
	v_fma_f16 v3, v3, 2.0, -v17
	v_fma_f16 v11, v11, 2.0, -v18
	v_fma_f16 v5, v5, 2.0, -v10
	v_fma_f16 v8, v19, 2.0, -v14
	v_pack_b32_f16 v4, v4, v6
	v_pack_b32_f16 v6, v9, v12
	;; [unrolled: 1-line block ×8, first 2 shown]
	s_clause 0x7
	global_store_b32 v[0:1], v4, off
	global_store_b32 v[0:1], v6, off offset:40
	global_store_b32 v[0:1], v3, off offset:80
	;; [unrolled: 1-line block ×7, first 2 shown]
.LBB0_18:
	s_nop 0
	s_sendmsg sendmsg(MSG_DEALLOC_VGPRS)
	s_endpgm
	.section	.rodata,"a",@progbits
	.p2align	6, 0x0
	.amdhsa_kernel fft_rtc_fwd_len80_factors_5_2_8_wgs_60_tpt_10_halfLds_half_ip_CI_unitstride_sbrr_dirReg
		.amdhsa_group_segment_fixed_size 0
		.amdhsa_private_segment_fixed_size 0
		.amdhsa_kernarg_size 88
		.amdhsa_user_sgpr_count 2
		.amdhsa_user_sgpr_dispatch_ptr 0
		.amdhsa_user_sgpr_queue_ptr 0
		.amdhsa_user_sgpr_kernarg_segment_ptr 1
		.amdhsa_user_sgpr_dispatch_id 0
		.amdhsa_user_sgpr_private_segment_size 0
		.amdhsa_wavefront_size32 1
		.amdhsa_uses_dynamic_stack 0
		.amdhsa_enable_private_segment 0
		.amdhsa_system_sgpr_workgroup_id_x 1
		.amdhsa_system_sgpr_workgroup_id_y 0
		.amdhsa_system_sgpr_workgroup_id_z 0
		.amdhsa_system_sgpr_workgroup_info 0
		.amdhsa_system_vgpr_workitem_id 0
		.amdhsa_next_free_vgpr 41
		.amdhsa_next_free_sgpr 32
		.amdhsa_reserve_vcc 1
		.amdhsa_float_round_mode_32 0
		.amdhsa_float_round_mode_16_64 0
		.amdhsa_float_denorm_mode_32 3
		.amdhsa_float_denorm_mode_16_64 3
		.amdhsa_fp16_overflow 0
		.amdhsa_workgroup_processor_mode 1
		.amdhsa_memory_ordered 1
		.amdhsa_forward_progress 0
		.amdhsa_round_robin_scheduling 0
		.amdhsa_exception_fp_ieee_invalid_op 0
		.amdhsa_exception_fp_denorm_src 0
		.amdhsa_exception_fp_ieee_div_zero 0
		.amdhsa_exception_fp_ieee_overflow 0
		.amdhsa_exception_fp_ieee_underflow 0
		.amdhsa_exception_fp_ieee_inexact 0
		.amdhsa_exception_int_div_zero 0
	.end_amdhsa_kernel
	.text
.Lfunc_end0:
	.size	fft_rtc_fwd_len80_factors_5_2_8_wgs_60_tpt_10_halfLds_half_ip_CI_unitstride_sbrr_dirReg, .Lfunc_end0-fft_rtc_fwd_len80_factors_5_2_8_wgs_60_tpt_10_halfLds_half_ip_CI_unitstride_sbrr_dirReg
                                        ; -- End function
	.section	.AMDGPU.csdata,"",@progbits
; Kernel info:
; codeLenInByte = 4616
; NumSgprs: 34
; NumVgprs: 41
; ScratchSize: 0
; MemoryBound: 0
; FloatMode: 240
; IeeeMode: 1
; LDSByteSize: 0 bytes/workgroup (compile time only)
; SGPRBlocks: 4
; VGPRBlocks: 5
; NumSGPRsForWavesPerEU: 34
; NumVGPRsForWavesPerEU: 41
; Occupancy: 16
; WaveLimiterHint : 1
; COMPUTE_PGM_RSRC2:SCRATCH_EN: 0
; COMPUTE_PGM_RSRC2:USER_SGPR: 2
; COMPUTE_PGM_RSRC2:TRAP_HANDLER: 0
; COMPUTE_PGM_RSRC2:TGID_X_EN: 1
; COMPUTE_PGM_RSRC2:TGID_Y_EN: 0
; COMPUTE_PGM_RSRC2:TGID_Z_EN: 0
; COMPUTE_PGM_RSRC2:TIDIG_COMP_CNT: 0
	.text
	.p2alignl 7, 3214868480
	.fill 96, 4, 3214868480
	.type	__hip_cuid_258677157681f5bd,@object ; @__hip_cuid_258677157681f5bd
	.section	.bss,"aw",@nobits
	.globl	__hip_cuid_258677157681f5bd
__hip_cuid_258677157681f5bd:
	.byte	0                               ; 0x0
	.size	__hip_cuid_258677157681f5bd, 1

	.ident	"AMD clang version 19.0.0git (https://github.com/RadeonOpenCompute/llvm-project roc-6.4.0 25133 c7fe45cf4b819c5991fe208aaa96edf142730f1d)"
	.section	".note.GNU-stack","",@progbits
	.addrsig
	.addrsig_sym __hip_cuid_258677157681f5bd
	.amdgpu_metadata
---
amdhsa.kernels:
  - .args:
      - .actual_access:  read_only
        .address_space:  global
        .offset:         0
        .size:           8
        .value_kind:     global_buffer
      - .offset:         8
        .size:           8
        .value_kind:     by_value
      - .actual_access:  read_only
        .address_space:  global
        .offset:         16
        .size:           8
        .value_kind:     global_buffer
      - .actual_access:  read_only
        .address_space:  global
        .offset:         24
        .size:           8
        .value_kind:     global_buffer
      - .offset:         32
        .size:           8
        .value_kind:     by_value
      - .actual_access:  read_only
        .address_space:  global
        .offset:         40
        .size:           8
        .value_kind:     global_buffer
      - .actual_access:  read_only
        .address_space:  global
        .offset:         48
        .size:           8
        .value_kind:     global_buffer
      - .offset:         56
        .size:           4
        .value_kind:     by_value
      - .actual_access:  read_only
        .address_space:  global
        .offset:         64
        .size:           8
        .value_kind:     global_buffer
      - .actual_access:  read_only
        .address_space:  global
        .offset:         72
        .size:           8
        .value_kind:     global_buffer
      - .address_space:  global
        .offset:         80
        .size:           8
        .value_kind:     global_buffer
    .group_segment_fixed_size: 0
    .kernarg_segment_align: 8
    .kernarg_segment_size: 88
    .language:       OpenCL C
    .language_version:
      - 2
      - 0
    .max_flat_workgroup_size: 60
    .name:           fft_rtc_fwd_len80_factors_5_2_8_wgs_60_tpt_10_halfLds_half_ip_CI_unitstride_sbrr_dirReg
    .private_segment_fixed_size: 0
    .sgpr_count:     34
    .sgpr_spill_count: 0
    .symbol:         fft_rtc_fwd_len80_factors_5_2_8_wgs_60_tpt_10_halfLds_half_ip_CI_unitstride_sbrr_dirReg.kd
    .uniform_work_group_size: 1
    .uses_dynamic_stack: false
    .vgpr_count:     41
    .vgpr_spill_count: 0
    .wavefront_size: 32
    .workgroup_processor_mode: 1
amdhsa.target:   amdgcn-amd-amdhsa--gfx1201
amdhsa.version:
  - 1
  - 2
...

	.end_amdgpu_metadata
